;; amdgpu-corpus repo=ROCm/rocFFT kind=compiled arch=gfx1030 opt=O3
	.text
	.amdgcn_target "amdgcn-amd-amdhsa--gfx1030"
	.amdhsa_code_object_version 6
	.protected	fft_rtc_fwd_len1620_factors_10_3_3_6_3_wgs_162_tpt_162_halfLds_sp_op_CI_CI_unitstride_sbrr_dirReg ; -- Begin function fft_rtc_fwd_len1620_factors_10_3_3_6_3_wgs_162_tpt_162_halfLds_sp_op_CI_CI_unitstride_sbrr_dirReg
	.globl	fft_rtc_fwd_len1620_factors_10_3_3_6_3_wgs_162_tpt_162_halfLds_sp_op_CI_CI_unitstride_sbrr_dirReg
	.p2align	8
	.type	fft_rtc_fwd_len1620_factors_10_3_3_6_3_wgs_162_tpt_162_halfLds_sp_op_CI_CI_unitstride_sbrr_dirReg,@function
fft_rtc_fwd_len1620_factors_10_3_3_6_3_wgs_162_tpt_162_halfLds_sp_op_CI_CI_unitstride_sbrr_dirReg: ; @fft_rtc_fwd_len1620_factors_10_3_3_6_3_wgs_162_tpt_162_halfLds_sp_op_CI_CI_unitstride_sbrr_dirReg
; %bb.0:
	s_clause 0x2
	s_load_dwordx4 s[8:11], s[4:5], 0x0
	s_load_dwordx4 s[12:15], s[4:5], 0x58
	;; [unrolled: 1-line block ×3, first 2 shown]
	v_mul_u32_u24_e32 v1, 0x195, v0
	v_mov_b32_e32 v7, 0
	v_mov_b32_e32 v5, 0
	;; [unrolled: 1-line block ×3, first 2 shown]
	v_add_nc_u32_sdwa v9, s6, v1 dst_sel:DWORD dst_unused:UNUSED_PAD src0_sel:DWORD src1_sel:WORD_1
	v_mov_b32_e32 v10, v7
	s_waitcnt lgkmcnt(0)
	v_cmp_lt_u64_e64 s0, s[10:11], 2
	s_and_b32 vcc_lo, exec_lo, s0
	s_cbranch_vccnz .LBB0_8
; %bb.1:
	s_load_dwordx2 s[0:1], s[4:5], 0x10
	v_mov_b32_e32 v5, 0
	v_mov_b32_e32 v6, 0
	s_add_u32 s2, s18, 8
	s_addc_u32 s3, s19, 0
	v_mov_b32_e32 v1, v5
	s_add_u32 s6, s16, 8
	v_mov_b32_e32 v2, v6
	s_addc_u32 s7, s17, 0
	s_mov_b64 s[22:23], 1
	s_waitcnt lgkmcnt(0)
	s_add_u32 s20, s0, 8
	s_addc_u32 s21, s1, 0
.LBB0_2:                                ; =>This Inner Loop Header: Depth=1
	s_load_dwordx2 s[24:25], s[20:21], 0x0
                                        ; implicit-def: $vgpr3_vgpr4
	s_mov_b32 s0, exec_lo
	s_waitcnt lgkmcnt(0)
	v_or_b32_e32 v8, s25, v10
	v_cmpx_ne_u64_e32 0, v[7:8]
	s_xor_b32 s1, exec_lo, s0
	s_cbranch_execz .LBB0_4
; %bb.3:                                ;   in Loop: Header=BB0_2 Depth=1
	v_cvt_f32_u32_e32 v3, s24
	v_cvt_f32_u32_e32 v4, s25
	s_sub_u32 s0, 0, s24
	s_subb_u32 s26, 0, s25
	v_fmac_f32_e32 v3, 0x4f800000, v4
	v_rcp_f32_e32 v3, v3
	v_mul_f32_e32 v3, 0x5f7ffffc, v3
	v_mul_f32_e32 v4, 0x2f800000, v3
	v_trunc_f32_e32 v4, v4
	v_fmac_f32_e32 v3, 0xcf800000, v4
	v_cvt_u32_f32_e32 v4, v4
	v_cvt_u32_f32_e32 v3, v3
	v_mul_lo_u32 v8, s0, v4
	v_mul_hi_u32 v11, s0, v3
	v_mul_lo_u32 v12, s26, v3
	v_add_nc_u32_e32 v8, v11, v8
	v_mul_lo_u32 v11, s0, v3
	v_add_nc_u32_e32 v8, v8, v12
	v_mul_hi_u32 v12, v3, v11
	v_mul_lo_u32 v13, v3, v8
	v_mul_hi_u32 v14, v3, v8
	v_mul_hi_u32 v15, v4, v11
	v_mul_lo_u32 v11, v4, v11
	v_mul_hi_u32 v16, v4, v8
	v_mul_lo_u32 v8, v4, v8
	v_add_co_u32 v12, vcc_lo, v12, v13
	v_add_co_ci_u32_e32 v13, vcc_lo, 0, v14, vcc_lo
	v_add_co_u32 v11, vcc_lo, v12, v11
	v_add_co_ci_u32_e32 v11, vcc_lo, v13, v15, vcc_lo
	v_add_co_ci_u32_e32 v12, vcc_lo, 0, v16, vcc_lo
	v_add_co_u32 v8, vcc_lo, v11, v8
	v_add_co_ci_u32_e32 v11, vcc_lo, 0, v12, vcc_lo
	v_add_co_u32 v3, vcc_lo, v3, v8
	v_add_co_ci_u32_e32 v4, vcc_lo, v4, v11, vcc_lo
	v_mul_hi_u32 v8, s0, v3
	v_mul_lo_u32 v12, s26, v3
	v_mul_lo_u32 v11, s0, v4
	v_add_nc_u32_e32 v8, v8, v11
	v_mul_lo_u32 v11, s0, v3
	v_add_nc_u32_e32 v8, v8, v12
	v_mul_hi_u32 v12, v3, v11
	v_mul_lo_u32 v13, v3, v8
	v_mul_hi_u32 v14, v3, v8
	v_mul_hi_u32 v15, v4, v11
	v_mul_lo_u32 v11, v4, v11
	v_mul_hi_u32 v16, v4, v8
	v_mul_lo_u32 v8, v4, v8
	v_add_co_u32 v12, vcc_lo, v12, v13
	v_add_co_ci_u32_e32 v13, vcc_lo, 0, v14, vcc_lo
	v_add_co_u32 v11, vcc_lo, v12, v11
	v_add_co_ci_u32_e32 v11, vcc_lo, v13, v15, vcc_lo
	v_add_co_ci_u32_e32 v12, vcc_lo, 0, v16, vcc_lo
	v_add_co_u32 v8, vcc_lo, v11, v8
	v_add_co_ci_u32_e32 v11, vcc_lo, 0, v12, vcc_lo
	v_add_co_u32 v8, vcc_lo, v3, v8
	v_add_co_ci_u32_e32 v13, vcc_lo, v4, v11, vcc_lo
	v_mul_hi_u32 v15, v9, v8
	v_mad_u64_u32 v[11:12], null, v10, v8, 0
	v_mad_u64_u32 v[3:4], null, v9, v13, 0
	;; [unrolled: 1-line block ×3, first 2 shown]
	v_add_co_u32 v3, vcc_lo, v15, v3
	v_add_co_ci_u32_e32 v4, vcc_lo, 0, v4, vcc_lo
	v_add_co_u32 v3, vcc_lo, v3, v11
	v_add_co_ci_u32_e32 v3, vcc_lo, v4, v12, vcc_lo
	v_add_co_ci_u32_e32 v4, vcc_lo, 0, v14, vcc_lo
	v_add_co_u32 v8, vcc_lo, v3, v13
	v_add_co_ci_u32_e32 v11, vcc_lo, 0, v4, vcc_lo
	v_mul_lo_u32 v12, s25, v8
	v_mad_u64_u32 v[3:4], null, s24, v8, 0
	v_mul_lo_u32 v13, s24, v11
	v_sub_co_u32 v3, vcc_lo, v9, v3
	v_add3_u32 v4, v4, v13, v12
	v_sub_nc_u32_e32 v12, v10, v4
	v_subrev_co_ci_u32_e64 v12, s0, s25, v12, vcc_lo
	v_add_co_u32 v13, s0, v8, 2
	v_add_co_ci_u32_e64 v14, s0, 0, v11, s0
	v_sub_co_u32 v15, s0, v3, s24
	v_sub_co_ci_u32_e32 v4, vcc_lo, v10, v4, vcc_lo
	v_subrev_co_ci_u32_e64 v12, s0, 0, v12, s0
	v_cmp_le_u32_e32 vcc_lo, s24, v15
	v_cmp_eq_u32_e64 s0, s25, v4
	v_cndmask_b32_e64 v15, 0, -1, vcc_lo
	v_cmp_le_u32_e32 vcc_lo, s25, v12
	v_cndmask_b32_e64 v16, 0, -1, vcc_lo
	v_cmp_le_u32_e32 vcc_lo, s24, v3
	;; [unrolled: 2-line block ×3, first 2 shown]
	v_cndmask_b32_e64 v17, 0, -1, vcc_lo
	v_cmp_eq_u32_e32 vcc_lo, s25, v12
	v_cndmask_b32_e64 v3, v17, v3, s0
	v_cndmask_b32_e32 v12, v16, v15, vcc_lo
	v_add_co_u32 v15, vcc_lo, v8, 1
	v_add_co_ci_u32_e32 v16, vcc_lo, 0, v11, vcc_lo
	v_cmp_ne_u32_e32 vcc_lo, 0, v12
	v_cndmask_b32_e32 v4, v16, v14, vcc_lo
	v_cndmask_b32_e32 v12, v15, v13, vcc_lo
	v_cmp_ne_u32_e32 vcc_lo, 0, v3
	v_cndmask_b32_e32 v4, v11, v4, vcc_lo
	v_cndmask_b32_e32 v3, v8, v12, vcc_lo
.LBB0_4:                                ;   in Loop: Header=BB0_2 Depth=1
	s_andn2_saveexec_b32 s0, s1
	s_cbranch_execz .LBB0_6
; %bb.5:                                ;   in Loop: Header=BB0_2 Depth=1
	v_cvt_f32_u32_e32 v3, s24
	s_sub_i32 s1, 0, s24
	v_rcp_iflag_f32_e32 v3, v3
	v_mul_f32_e32 v3, 0x4f7ffffe, v3
	v_cvt_u32_f32_e32 v3, v3
	v_mul_lo_u32 v4, s1, v3
	v_mul_hi_u32 v4, v3, v4
	v_add_nc_u32_e32 v3, v3, v4
	v_mul_hi_u32 v3, v9, v3
	v_mul_lo_u32 v4, v3, s24
	v_add_nc_u32_e32 v8, 1, v3
	v_sub_nc_u32_e32 v4, v9, v4
	v_subrev_nc_u32_e32 v11, s24, v4
	v_cmp_le_u32_e32 vcc_lo, s24, v4
	v_cndmask_b32_e32 v4, v4, v11, vcc_lo
	v_cndmask_b32_e32 v3, v3, v8, vcc_lo
	v_cmp_le_u32_e32 vcc_lo, s24, v4
	v_add_nc_u32_e32 v8, 1, v3
	v_mov_b32_e32 v4, v7
	v_cndmask_b32_e32 v3, v3, v8, vcc_lo
.LBB0_6:                                ;   in Loop: Header=BB0_2 Depth=1
	s_or_b32 exec_lo, exec_lo, s0
	v_mul_lo_u32 v8, v4, s24
	v_mul_lo_u32 v13, v3, s25
	s_load_dwordx2 s[0:1], s[6:7], 0x0
	v_mad_u64_u32 v[11:12], null, v3, s24, 0
	s_load_dwordx2 s[24:25], s[2:3], 0x0
	s_add_u32 s22, s22, 1
	s_addc_u32 s23, s23, 0
	s_add_u32 s2, s2, 8
	s_addc_u32 s3, s3, 0
	s_add_u32 s6, s6, 8
	v_add3_u32 v8, v12, v13, v8
	v_sub_co_u32 v9, vcc_lo, v9, v11
	s_addc_u32 s7, s7, 0
	s_add_u32 s20, s20, 8
	v_sub_co_ci_u32_e32 v8, vcc_lo, v10, v8, vcc_lo
	s_addc_u32 s21, s21, 0
	s_waitcnt lgkmcnt(0)
	v_mul_lo_u32 v10, s0, v8
	v_mul_lo_u32 v11, s1, v9
	v_mad_u64_u32 v[5:6], null, s0, v9, v[5:6]
	v_mul_lo_u32 v8, s24, v8
	v_mul_lo_u32 v12, s25, v9
	v_mad_u64_u32 v[1:2], null, s24, v9, v[1:2]
	v_cmp_ge_u64_e64 s0, s[22:23], s[10:11]
	v_add3_u32 v6, v11, v6, v10
	v_add3_u32 v2, v12, v2, v8
	s_and_b32 vcc_lo, exec_lo, s0
	s_cbranch_vccnz .LBB0_9
; %bb.7:                                ;   in Loop: Header=BB0_2 Depth=1
	v_mov_b32_e32 v10, v4
	v_mov_b32_e32 v9, v3
	s_branch .LBB0_2
.LBB0_8:
	v_mov_b32_e32 v1, v5
	v_mov_b32_e32 v3, v9
	;; [unrolled: 1-line block ×4, first 2 shown]
.LBB0_9:
	s_load_dwordx2 s[0:1], s[4:5], 0x28
	v_mul_hi_u32 v7, 0x1948b10, v0
	s_lshl_b64 s[4:5], s[10:11], 3
                                        ; implicit-def: $vgpr32
	s_add_u32 s2, s18, s4
	s_addc_u32 s3, s19, s5
	s_waitcnt lgkmcnt(0)
	v_cmp_gt_u64_e32 vcc_lo, s[0:1], v[3:4]
	v_cmp_le_u64_e64 s0, s[0:1], v[3:4]
	s_and_saveexec_b32 s1, s0
	s_xor_b32 s0, exec_lo, s1
; %bb.10:
	v_mul_u32_u24_e32 v5, 0xa2, v7
                                        ; implicit-def: $vgpr7
	v_sub_nc_u32_e32 v32, v0, v5
                                        ; implicit-def: $vgpr0
                                        ; implicit-def: $vgpr5_vgpr6
; %bb.11:
	s_or_saveexec_b32 s1, s0
                                        ; implicit-def: $vgpr12
                                        ; implicit-def: $vgpr27
                                        ; implicit-def: $vgpr14
                                        ; implicit-def: $vgpr21
                                        ; implicit-def: $vgpr17
                                        ; implicit-def: $vgpr25
                                        ; implicit-def: $vgpr19
                                        ; implicit-def: $vgpr23
                                        ; implicit-def: $vgpr10
                                        ; implicit-def: $vgpr8
	s_xor_b32 exec_lo, exec_lo, s1
	s_cbranch_execz .LBB0_13
; %bb.12:
	s_add_u32 s4, s16, s4
	s_addc_u32 s5, s17, s5
	v_lshlrev_b64 v[5:6], 3, v[5:6]
	s_load_dwordx2 s[4:5], s[4:5], 0x0
	s_waitcnt lgkmcnt(0)
	v_mul_lo_u32 v10, s5, v3
	v_mul_lo_u32 v11, s4, v4
	v_mad_u64_u32 v[8:9], null, s4, v3, 0
	v_add3_u32 v9, v9, v11, v10
	v_mul_u32_u24_e32 v10, 0xa2, v7
	v_lshlrev_b64 v[7:8], 3, v[8:9]
	v_sub_nc_u32_e32 v32, v0, v10
	v_add_co_u32 v0, s0, s12, v7
	v_add_co_ci_u32_e64 v7, s0, s13, v8, s0
	v_lshlrev_b32_e32 v8, 3, v32
	v_add_co_u32 v0, s0, v0, v5
	v_add_co_ci_u32_e64 v6, s0, v7, v6, s0
	v_add_co_u32 v5, s0, v0, v8
	v_add_co_ci_u32_e64 v6, s0, 0, v6, s0
	;; [unrolled: 2-line block ×7, first 2 shown]
	s_clause 0x9
	global_load_dwordx2 v[7:8], v[5:6], off
	global_load_dwordx2 v[9:10], v[5:6], off offset:1296
	global_load_dwordx2 v[22:23], v[11:12], off offset:544
	;; [unrolled: 1-line block ×9, first 2 shown]
.LBB0_13:
	s_or_b32 exec_lo, exec_lo, s1
	s_waitcnt vmcnt(3)
	v_add_f32_e32 v0, v20, v24
	s_waitcnt vmcnt(1)
	v_sub_f32_e32 v6, v23, v27
	v_add_f32_e32 v30, v26, v22
	v_add_f32_e32 v5, v22, v7
	v_sub_f32_e32 v15, v25, v21
	v_fma_f32 v0, -0.5, v0, v7
	v_sub_f32_e32 v28, v22, v24
	v_sub_f32_e32 v29, v26, v20
	v_fmac_f32_e32 v7, -0.5, v30
	v_add_f32_e32 v31, v18, v9
	v_fmamk_f32 v34, v6, 0x3f737871, v0
	v_fmac_f32_e32 v0, 0xbf737871, v6
	v_add_f32_e32 v28, v29, v28
	v_fmamk_f32 v35, v15, 0xbf737871, v7
	v_fmac_f32_e32 v7, 0x3f737871, v15
	v_fmac_f32_e32 v34, 0x3f167918, v15
	;; [unrolled: 1-line block ×3, first 2 shown]
	v_add_f32_e32 v15, v16, v31
	v_add_f32_e32 v29, v13, v16
	v_sub_f32_e32 v30, v20, v26
	v_fmac_f32_e32 v34, 0x3e9e377a, v28
	v_fmac_f32_e32 v0, 0x3e9e377a, v28
	v_sub_f32_e32 v28, v24, v22
	v_fmac_f32_e32 v35, 0x3f167918, v6
	v_fmac_f32_e32 v7, 0xbf167918, v6
	v_add_f32_e32 v6, v13, v15
	s_waitcnt vmcnt(0)
	v_add_f32_e32 v15, v11, v18
	v_fma_f32 v33, -0.5, v29, v9
	v_sub_f32_e32 v29, v19, v12
	v_add_f32_e32 v28, v30, v28
	v_sub_f32_e32 v30, v17, v14
	v_fmac_f32_e32 v9, -0.5, v15
	v_add_f32_e32 v15, v14, v17
	v_fmamk_f32 v37, v29, 0x3f737871, v33
	v_sub_f32_e32 v31, v18, v16
	v_sub_f32_e32 v36, v11, v13
	v_fmac_f32_e32 v35, 0x3e9e377a, v28
	v_fmac_f32_e32 v7, 0x3e9e377a, v28
	;; [unrolled: 1-line block ×3, first 2 shown]
	v_sub_f32_e32 v28, v16, v18
	v_fma_f32 v38, -0.5, v15, v10
	v_sub_f32_e32 v15, v18, v11
	v_add_f32_e32 v18, v12, v19
	v_fmac_f32_e32 v37, 0x3f167918, v30
	v_add_f32_e32 v31, v36, v31
	v_fmamk_f32 v39, v30, 0xbf737871, v9
	v_sub_f32_e32 v36, v13, v11
	v_fmac_f32_e32 v33, 0xbf167918, v30
	v_fmac_f32_e32 v9, 0x3f737871, v30
	v_sub_f32_e32 v16, v16, v13
	v_fma_f32 v18, -0.5, v18, v10
	v_add_f32_e32 v6, v11, v6
	v_fmac_f32_e32 v37, 0x3e9e377a, v31
	v_fmac_f32_e32 v39, 0x3f167918, v29
	v_add_f32_e32 v28, v36, v28
	v_fmamk_f32 v11, v15, 0xbf737871, v38
	v_fmac_f32_e32 v33, 0x3e9e377a, v31
	v_fmac_f32_e32 v9, 0xbf167918, v29
	v_sub_f32_e32 v29, v19, v17
	v_sub_f32_e32 v30, v12, v14
	v_fmac_f32_e32 v38, 0x3f737871, v15
	v_fmamk_f32 v13, v16, 0x3f737871, v18
	v_sub_f32_e32 v31, v17, v19
	v_sub_f32_e32 v36, v14, v12
	v_fmac_f32_e32 v18, 0xbf737871, v16
	v_add_f32_e32 v5, v24, v5
	v_fmac_f32_e32 v11, 0xbf167918, v16
	v_add_f32_e32 v29, v30, v29
	v_fmac_f32_e32 v38, 0x3f167918, v16
	v_fmac_f32_e32 v13, 0xbf167918, v15
	v_add_f32_e32 v16, v36, v31
	v_fmac_f32_e32 v9, 0x3e9e377a, v28
	v_fmac_f32_e32 v18, 0x3f167918, v15
	;; [unrolled: 1-line block ×3, first 2 shown]
	v_add_f32_e32 v5, v20, v5
	v_fmac_f32_e32 v38, 0x3e9e377a, v29
	v_fmac_f32_e32 v13, 0x3e9e377a, v16
	;; [unrolled: 1-line block ×3, first 2 shown]
	v_mul_f32_e32 v16, 0x3e9e377a, v9
	v_mul_f32_e32 v28, 0x3f4f1bbd, v33
	v_mul_u32_u24_e32 v40, 10, v32
	v_fmac_f32_e32 v11, 0x3e9e377a, v29
	v_mul_f32_e32 v36, 0x3f4f1bbd, v37
	v_mul_f32_e32 v41, 0x3e9e377a, v39
	v_add_f32_e32 v5, v26, v5
	v_fma_f32 v42, 0x3f737871, v18, -v16
	v_fma_f32 v43, 0x3f167918, v38, -v28
	v_lshl_add_u32 v40, v40, 2, 0
	v_fmac_f32_e32 v36, 0x3f167918, v11
	v_fmac_f32_e32 v41, 0x3f737871, v13
	v_add_f32_e32 v15, v6, v5
	v_add_f32_e32 v29, v7, v42
	;; [unrolled: 1-line block ×3, first 2 shown]
	v_sub_f32_e32 v31, v5, v6
	v_sub_f32_e32 v6, v7, v42
	;; [unrolled: 1-line block ×3, first 2 shown]
	v_mad_i32_i24 v0, 0xffffffdc, v32, v40
	v_add_f32_e32 v16, v34, v36
	v_add_f32_e32 v28, v35, v41
	v_sub_f32_e32 v34, v34, v36
	v_sub_f32_e32 v35, v35, v41
	v_add_nc_u32_e32 v41, 0x500, v0
	v_add_nc_u32_e32 v42, 0x1000, v0
	;; [unrolled: 1-line block ×3, first 2 shown]
	s_load_dwordx2 s[4:5], s[2:3], 0x0
	ds_write2_b64 v40, v[15:16], v[28:29] offset1:1
	ds_write2_b64 v40, v[30:31], v[34:35] offset0:2 offset1:3
	ds_write_b64 v40, v[6:7] offset:32
	s_waitcnt lgkmcnt(0)
	s_barrier
	buffer_gl0_inv
	ds_read2_b32 v[15:16], v0 offset1:162
	ds_read2_b32 v[5:6], v41 offset0:4 offset1:220
	ds_read2_b32 v[30:31], v42 offset0:56 offset1:218
	;; [unrolled: 1-line block ×3, first 2 shown]
	ds_read_b32 v34, v0 offset:5616
	v_cmp_gt_u32_e64 s0, 54, v32
                                        ; implicit-def: $vgpr35
                                        ; implicit-def: $vgpr36
	s_and_saveexec_b32 s1, s0
	s_cbranch_execz .LBB0_15
; %bb.14:
	ds_read_b32 v7, v0 offset:1944
	ds_read_b32 v36, v0 offset:4104
	;; [unrolled: 1-line block ×3, first 2 shown]
.LBB0_15:
	s_or_b32 exec_lo, exec_lo, s1
	v_add_f32_e32 v44, v23, v8
	v_add_f32_e32 v45, v21, v25
	;; [unrolled: 1-line block ×3, first 2 shown]
	v_sub_f32_e32 v20, v24, v20
	v_sub_f32_e32 v22, v22, v26
	v_add_f32_e32 v44, v25, v44
	v_fma_f32 v45, -0.5, v45, v8
	v_fmac_f32_e32 v8, -0.5, v46
	v_sub_f32_e32 v26, v23, v25
	v_sub_f32_e32 v47, v27, v21
	v_add_f32_e32 v24, v21, v44
	v_sub_f32_e32 v23, v25, v23
	v_fmamk_f32 v46, v20, 0x3f737871, v8
	v_sub_f32_e32 v21, v21, v27
	v_fmac_f32_e32 v8, 0xbf737871, v20
	v_add_f32_e32 v10, v19, v10
	v_fmamk_f32 v44, v22, 0xbf737871, v45
	v_fmac_f32_e32 v45, 0x3f737871, v22
	v_fmac_f32_e32 v46, 0xbf167918, v22
	v_add_f32_e32 v19, v21, v23
	v_fmac_f32_e32 v8, 0x3f167918, v22
	v_add_f32_e32 v10, v17, v10
	v_add_f32_e32 v26, v47, v26
	v_fmac_f32_e32 v44, 0xbf167918, v20
	v_fmac_f32_e32 v45, 0x3f167918, v20
	;; [unrolled: 1-line block ×4, first 2 shown]
	v_add_f32_e32 v10, v14, v10
	v_mul_f32_e32 v19, 0xbf167918, v37
	v_mul_f32_e32 v20, 0xbf737871, v39
	;; [unrolled: 1-line block ×4, first 2 shown]
	v_add_f32_e32 v24, v27, v24
	v_fmac_f32_e32 v44, 0x3e9e377a, v26
	v_add_f32_e32 v10, v12, v10
	v_fmac_f32_e32 v19, 0x3f4f1bbd, v11
	v_fmac_f32_e32 v20, 0x3e9e377a, v13
	v_fma_f32 v9, 0xbf737871, v9, -v14
	v_fmac_f32_e32 v45, 0x3e9e377a, v26
	v_fma_f32 v21, 0xbf167918, v33, -v17
	v_add_f32_e32 v11, v10, v24
	v_add_f32_e32 v12, v44, v19
	;; [unrolled: 1-line block ×5, first 2 shown]
	v_sub_f32_e32 v18, v24, v10
	v_sub_f32_e32 v19, v44, v19
	;; [unrolled: 1-line block ×5, first 2 shown]
	s_waitcnt lgkmcnt(0)
	s_barrier
	buffer_gl0_inv
	ds_write2_b64 v40, v[11:12], v[13:14] offset1:1
	ds_write2_b64 v40, v[17:18], v[19:20] offset0:2 offset1:3
	ds_write_b64 v40, v[9:10] offset:32
	s_waitcnt lgkmcnt(0)
	s_barrier
	buffer_gl0_inv
	ds_read2_b32 v[11:12], v0 offset1:162
	ds_read2_b32 v[8:9], v41 offset0:4 offset1:220
	ds_read2_b32 v[17:18], v42 offset0:56 offset1:218
	;; [unrolled: 1-line block ×3, first 2 shown]
	ds_read_b32 v20, v0 offset:5616
                                        ; implicit-def: $vgpr21
                                        ; implicit-def: $vgpr22
	s_and_saveexec_b32 s1, s0
	s_cbranch_execz .LBB0_17
; %bb.16:
	ds_read_b32 v10, v0 offset:1944
	ds_read_b32 v22, v0 offset:4104
	;; [unrolled: 1-line block ×3, first 2 shown]
.LBB0_17:
	s_or_b32 exec_lo, exec_lo, s1
	v_and_b32_e32 v33, 0xff, v32
	v_add_nc_u32_e32 v26, 0xa2, v32
	v_mov_b32_e32 v19, 0xcccd
	v_add_nc_u32_e32 v27, 0x144, v32
	v_add_nc_u32_e32 v25, 0x1e6, v32
	v_mul_lo_u16 v23, 0xcd, v33
	v_mov_b32_e32 v39, 4
	v_mul_u32_u24_sdwa v24, v26, v19 dst_sel:DWORD dst_unused:UNUSED_PAD src0_sel:WORD_0 src1_sel:DWORD
	v_mul_u32_u24_sdwa v37, v27, v19 dst_sel:DWORD dst_unused:UNUSED_PAD src0_sel:WORD_0 src1_sel:DWORD
	;; [unrolled: 1-line block ×3, first 2 shown]
	v_lshrrev_b16 v23, 11, v23
	v_mov_b32_e32 v51, 2
	v_lshrrev_b32_e32 v24, 19, v24
	v_lshrrev_b32_e32 v37, 19, v37
	;; [unrolled: 1-line block ×3, first 2 shown]
	v_mul_lo_u16 v38, v23, 10
	v_mul_lo_u16 v40, v24, 10
	;; [unrolled: 1-line block ×3, first 2 shown]
	v_mul_u32_u24_e32 v24, 0x78, v24
	v_sub_nc_u16 v38, v32, v38
	v_sub_nc_u16 v40, v26, v40
	;; [unrolled: 1-line block ×3, first 2 shown]
	v_lshlrev_b32_sdwa v42, v39, v38 dst_sel:DWORD dst_unused:UNUSED_PAD src0_sel:DWORD src1_sel:BYTE_0
	v_lshlrev_b32_sdwa v38, v51, v38 dst_sel:DWORD dst_unused:UNUSED_PAD src0_sel:DWORD src1_sel:BYTE_0
	v_lshlrev_b32_sdwa v19, v39, v40 dst_sel:DWORD dst_unused:UNUSED_PAD src0_sel:DWORD src1_sel:WORD_0
	v_lshlrev_b32_sdwa v44, v39, v41 dst_sel:DWORD dst_unused:UNUSED_PAD src0_sel:DWORD src1_sel:WORD_0
	;; [unrolled: 1-line block ×3, first 2 shown]
	s_clause 0x1
	global_load_dwordx4 v[52:55], v42, s[8:9]
	global_load_dwordx4 v[56:59], v19, s[8:9]
	v_mul_lo_u16 v42, v43, 10
	global_load_dwordx4 v[60:63], v44, s[8:9]
	v_sub_nc_u16 v19, v25, v42
	v_mul_u32_u24_e32 v42, 0x78, v37
	v_mul_lo_u16 v37, v43, 30
	v_lshlrev_b32_sdwa v39, v39, v19 dst_sel:DWORD dst_unused:UNUSED_PAD src0_sel:DWORD src1_sel:WORD_0
	global_load_dwordx4 v[64:67], v39, s[8:9]
	v_mov_b32_e32 v39, 0x78
	s_waitcnt vmcnt(0) lgkmcnt(0)
	s_barrier
	buffer_gl0_inv
	v_mul_u32_u24_sdwa v23, v23, v39 dst_sel:DWORD dst_unused:UNUSED_PAD src0_sel:WORD_0 src1_sel:DWORD
	v_lshlrev_b32_sdwa v39, v51, v40 dst_sel:DWORD dst_unused:UNUSED_PAD src0_sel:DWORD src1_sel:WORD_0
	v_add3_u32 v40, 0, v23, v38
	v_add3_u32 v38, 0, v42, v41
	;; [unrolled: 1-line block ×3, first 2 shown]
	v_mul_f32_e32 v23, v9, v53
	v_mul_f32_e32 v46, v6, v53
	;; [unrolled: 1-line block ×8, first 2 shown]
	v_fma_f32 v49, v6, v52, -v23
	v_fmac_f32_e32 v46, v9, v52
	v_fma_f32 v50, v30, v54, -v41
	v_fmac_f32_e32 v43, v17, v54
	v_mul_f32_e32 v9, v34, v63
	v_mul_f32_e32 v45, v28, v57
	;; [unrolled: 1-line block ×4, first 2 shown]
	v_fma_f32 v47, v31, v58, -v47
	v_fma_f32 v48, v28, v56, -v42
	v_mul_f32_e32 v6, v22, v65
	v_mul_f32_e32 v41, v36, v65
	;; [unrolled: 1-line block ×4, first 2 shown]
	v_fma_f32 v42, v29, v60, -v53
	v_fma_f32 v34, v34, v62, -v55
	v_fmac_f32_e32 v9, v20, v62
	v_fma_f32 v20, v36, v64, -v6
	v_fmac_f32_e32 v41, v22, v64
	;; [unrolled: 2-line block ×3, first 2 shown]
	v_fmac_f32_e32 v44, v18, v58
	v_fmac_f32_e32 v24, v14, v60
	;; [unrolled: 1-line block ×3, first 2 shown]
	v_add_f32_e32 v13, v49, v50
	v_add_f32_e32 v18, v48, v47
	;; [unrolled: 1-line block ×5, first 2 shown]
	v_sub_f32_e32 v14, v46, v43
	v_add_f32_e32 v17, v16, v48
	v_sub_f32_e32 v21, v45, v44
	v_add_f32_e32 v23, v5, v42
	;; [unrolled: 2-line block ×3, first 2 shown]
	v_sub_f32_e32 v36, v41, v31
	v_fma_f32 v13, -0.5, v13, v15
	v_fmac_f32_e32 v16, -0.5, v18
	v_fmac_f32_e32 v5, -0.5, v28
	;; [unrolled: 1-line block ×3, first 2 shown]
	v_add_f32_e32 v6, v6, v50
	v_add_f32_e32 v15, v17, v47
	v_add_f32_e32 v17, v23, v34
	v_add_f32_e32 v23, v30, v22
	v_fmamk_f32 v18, v14, 0x3f5db3d7, v13
	v_fmac_f32_e32 v13, 0xbf5db3d7, v14
	v_fmamk_f32 v14, v21, 0x3f5db3d7, v16
	v_fmac_f32_e32 v16, 0xbf5db3d7, v21
	;; [unrolled: 2-line block ×4, first 2 shown]
	ds_write2_b32 v40, v6, v18 offset1:10
	ds_write_b32 v40, v13 offset:80
	ds_write2_b32 v39, v15, v14 offset1:10
	ds_write_b32 v39, v16 offset:80
	;; [unrolled: 2-line block ×3, first 2 shown]
	s_and_saveexec_b32 s1, s0
	s_cbranch_execz .LBB0_19
; %bb.18:
	v_lshlrev_b32_sdwa v5, v51, v19 dst_sel:DWORD dst_unused:UNUSED_PAD src0_sel:DWORD src1_sel:WORD_0
	v_lshlrev_b32_sdwa v6, v51, v37 dst_sel:DWORD dst_unused:UNUSED_PAD src0_sel:DWORD src1_sel:WORD_0
	v_add3_u32 v5, 0, v5, v6
	ds_write2_b32 v5, v23, v29 offset1:10
	ds_write_b32 v5, v7 offset:80
.LBB0_19:
	s_or_b32 exec_lo, exec_lo, s1
	v_add_nc_u32_e32 v5, 0x500, v0
	v_add_nc_u32_e32 v15, 0x1000, v0
	;; [unrolled: 1-line block ×3, first 2 shown]
	s_waitcnt lgkmcnt(0)
	s_barrier
	buffer_gl0_inv
	ds_read2_b32 v[13:14], v0 offset1:162
	ds_read2_b32 v[5:6], v5 offset0:4 offset1:220
	ds_read2_b32 v[17:18], v15 offset0:56 offset1:218
	;; [unrolled: 1-line block ×3, first 2 shown]
	ds_read_b32 v30, v0 offset:5616
	v_lshl_add_u32 v28, v32, 2, 0
	s_and_saveexec_b32 s1, s0
	s_cbranch_execz .LBB0_21
; %bb.20:
	ds_read_b32 v29, v0 offset:4104
	ds_read_b32 v23, v28 offset:1944
	;; [unrolled: 1-line block ×3, first 2 shown]
.LBB0_21:
	s_or_b32 exec_lo, exec_lo, s1
	v_add_f32_e32 v21, v46, v43
	v_add_f32_e32 v35, v11, v46
	;; [unrolled: 1-line block ×3, first 2 shown]
	v_sub_f32_e32 v36, v49, v50
	v_sub_f32_e32 v34, v42, v34
	v_fma_f32 v11, -0.5, v21, v11
	v_add_f32_e32 v21, v12, v45
	v_sub_f32_e32 v45, v48, v47
	v_fmac_f32_e32 v12, -0.5, v46
	v_add_f32_e32 v35, v35, v43
	v_fmamk_f32 v43, v36, 0xbf5db3d7, v11
	v_fmac_f32_e32 v11, 0x3f5db3d7, v36
	v_add_f32_e32 v21, v21, v44
	v_add_f32_e32 v36, v24, v9
	v_fmamk_f32 v44, v45, 0xbf5db3d7, v12
	v_fmac_f32_e32 v12, 0x3f5db3d7, v45
	v_add_f32_e32 v45, v41, v31
	v_add_f32_e32 v24, v8, v24
	v_fmac_f32_e32 v8, -0.5, v36
	v_add_f32_e32 v36, v10, v41
	v_sub_f32_e32 v20, v20, v22
	v_fmac_f32_e32 v10, -0.5, v45
	v_add_f32_e32 v9, v24, v9
	v_fmamk_f32 v22, v34, 0xbf5db3d7, v8
	v_fmac_f32_e32 v8, 0x3f5db3d7, v34
	v_add_f32_e32 v24, v36, v31
	v_fmamk_f32 v34, v20, 0xbf5db3d7, v10
	v_fmac_f32_e32 v10, 0x3f5db3d7, v20
	s_waitcnt lgkmcnt(0)
	s_barrier
	buffer_gl0_inv
	ds_write2_b32 v40, v35, v43 offset1:10
	ds_write_b32 v40, v11 offset:80
	ds_write2_b32 v39, v21, v44 offset1:10
	ds_write_b32 v39, v12 offset:80
	;; [unrolled: 2-line block ×3, first 2 shown]
	s_and_saveexec_b32 s1, s0
	s_cbranch_execz .LBB0_23
; %bb.22:
	v_mov_b32_e32 v8, 2
	v_lshlrev_b32_sdwa v9, v8, v19 dst_sel:DWORD dst_unused:UNUSED_PAD src0_sel:DWORD src1_sel:WORD_0
	v_lshlrev_b32_sdwa v8, v8, v37 dst_sel:DWORD dst_unused:UNUSED_PAD src0_sel:DWORD src1_sel:WORD_0
	v_add3_u32 v8, 0, v9, v8
	ds_write2_b32 v8, v24, v34 offset1:10
	ds_write_b32 v8, v10 offset:80
.LBB0_23:
	s_or_b32 exec_lo, exec_lo, s1
	v_add_nc_u32_e32 v8, 0x500, v0
	v_add_nc_u32_e32 v19, 0x1000, v0
	;; [unrolled: 1-line block ×3, first 2 shown]
	s_waitcnt lgkmcnt(0)
	s_barrier
	buffer_gl0_inv
	ds_read2_b32 v[11:12], v0 offset1:162
	ds_read2_b32 v[8:9], v8 offset0:4 offset1:220
	ds_read2_b32 v[21:22], v19 offset0:56 offset1:218
	;; [unrolled: 1-line block ×3, first 2 shown]
	ds_read_b32 v35, v0 offset:5616
	s_and_saveexec_b32 s1, s0
	s_cbranch_execz .LBB0_25
; %bb.24:
	ds_read_b32 v34, v0 offset:4104
	ds_read_b32 v24, v28 offset:1944
	;; [unrolled: 1-line block ×3, first 2 shown]
.LBB0_25:
	s_or_b32 exec_lo, exec_lo, s1
	v_mul_lo_u16 v31, 0x89, v33
	v_mov_b32_e32 v33, 0x8889
	v_mov_b32_e32 v38, 4
	;; [unrolled: 1-line block ×3, first 2 shown]
	v_lshrrev_b16 v36, 12, v31
	v_mul_u32_u24_sdwa v31, v26, v33 dst_sel:DWORD dst_unused:UNUSED_PAD src0_sel:WORD_0 src1_sel:DWORD
	v_mul_u32_u24_sdwa v39, v27, v33 dst_sel:DWORD dst_unused:UNUSED_PAD src0_sel:WORD_0 src1_sel:DWORD
	v_mul_lo_u16 v37, v36, 30
	v_lshrrev_b32_e32 v43, 20, v31
	v_mul_u32_u24_sdwa v31, v25, v33 dst_sel:DWORD dst_unused:UNUSED_PAD src0_sel:WORD_0 src1_sel:DWORD
	v_lshrrev_b32_e32 v33, 20, v39
	v_sub_nc_u16 v37, v32, v37
	v_mul_lo_u16 v39, v43, 30
	v_lshrrev_b32_e32 v44, 20, v31
	v_mul_lo_u16 v31, v33, 30
	v_lshlrev_b32_sdwa v40, v38, v37 dst_sel:DWORD dst_unused:UNUSED_PAD src0_sel:DWORD src1_sel:BYTE_0
	v_sub_nc_u16 v45, v26, v39
	v_mul_lo_u16 v46, v44, 30
	v_sub_nc_u16 v47, v27, v31
	v_lshlrev_b32_sdwa v37, v50, v37 dst_sel:DWORD dst_unused:UNUSED_PAD src0_sel:DWORD src1_sel:BYTE_0
	global_load_dwordx4 v[39:42], v40, s[8:9] offset:160
	v_lshlrev_b32_sdwa v48, v38, v45 dst_sel:DWORD dst_unused:UNUSED_PAD src0_sel:DWORD src1_sel:WORD_0
	v_sub_nc_u16 v31, v25, v46
	v_lshlrev_b32_sdwa v46, v38, v47 dst_sel:DWORD dst_unused:UNUSED_PAD src0_sel:DWORD src1_sel:WORD_0
	global_load_dwordx4 v[51:54], v48, s[8:9] offset:160
	v_lshlrev_b32_sdwa v38, v38, v31 dst_sel:DWORD dst_unused:UNUSED_PAD src0_sel:DWORD src1_sel:WORD_0
	s_clause 0x1
	global_load_dwordx4 v[55:58], v46, s[8:9] offset:160
	global_load_dwordx4 v[59:62], v38, s[8:9] offset:160
	v_mov_b32_e32 v38, 0x168
	s_waitcnt vmcnt(0) lgkmcnt(0)
	s_barrier
	buffer_gl0_inv
	v_mul_u32_u24_sdwa v36, v36, v38 dst_sel:DWORD dst_unused:UNUSED_PAD src0_sel:WORD_0 src1_sel:DWORD
	v_mul_u32_u24_e32 v38, 0x168, v43
	v_mul_u32_u24_e32 v43, 0x168, v33
	v_mul_lo_u16 v33, 0x5a, v44
	v_lshlrev_b32_sdwa v44, v50, v47 dst_sel:DWORD dst_unused:UNUSED_PAD src0_sel:DWORD src1_sel:WORD_0
	v_add3_u32 v36, 0, v36, v37
	v_lshlrev_b32_sdwa v37, v50, v45 dst_sel:DWORD dst_unused:UNUSED_PAD src0_sel:DWORD src1_sel:WORD_0
	v_add3_u32 v37, 0, v38, v37
	v_add3_u32 v38, 0, v43, v44
	v_mul_f32_e32 v46, v9, v40
	v_mul_f32_e32 v45, v6, v40
	;; [unrolled: 1-line block ×4, first 2 shown]
	v_fma_f32 v46, v6, v39, -v46
	v_fmac_f32_e32 v45, v9, v39
	v_fma_f32 v47, v17, v41, -v40
	v_fmac_f32_e32 v42, v21, v41
	v_mul_f32_e32 v6, v19, v52
	v_mul_f32_e32 v44, v15, v52
	;; [unrolled: 1-line block ×11, first 2 shown]
	v_fma_f32 v48, v18, v53, -v9
	v_mul_f32_e32 v39, v7, v62
	v_fma_f32 v49, v15, v51, -v6
	v_fmac_f32_e32 v43, v22, v53
	v_fma_f32 v15, v16, v55, -v21
	v_fma_f32 v22, v30, v57, -v52
	;; [unrolled: 1-line block ×3, first 2 shown]
	v_add_f32_e32 v9, v46, v47
	v_fma_f32 v29, v7, v61, -v56
	v_fmac_f32_e32 v44, v19, v51
	v_fmac_f32_e32 v40, v20, v55
	;; [unrolled: 1-line block ×4, first 2 shown]
	v_add_f32_e32 v6, v13, v46
	v_fmac_f32_e32 v39, v10, v61
	v_fma_f32 v19, -0.5, v9, v13
	v_add_f32_e32 v9, v49, v48
	v_add_f32_e32 v20, v15, v22
	;; [unrolled: 1-line block ×3, first 2 shown]
	v_sub_f32_e32 v7, v45, v42
	v_add_f32_e32 v18, v6, v47
	v_add_f32_e32 v6, v14, v49
	v_sub_f32_e32 v10, v44, v43
	v_add_f32_e32 v13, v5, v15
	v_sub_f32_e32 v21, v40, v17
	;; [unrolled: 2-line block ×3, first 2 shown]
	v_fmac_f32_e32 v14, -0.5, v9
	v_fmac_f32_e32 v5, -0.5, v20
	;; [unrolled: 1-line block ×3, first 2 shown]
	v_fmamk_f32 v51, v7, 0x3f5db3d7, v19
	v_fmac_f32_e32 v19, 0xbf5db3d7, v7
	v_add_f32_e32 v7, v6, v48
	v_add_f32_e32 v6, v13, v22
	;; [unrolled: 1-line block ×3, first 2 shown]
	v_fmamk_f32 v20, v10, 0x3f5db3d7, v14
	v_fmac_f32_e32 v14, 0xbf5db3d7, v10
	v_fmamk_f32 v10, v21, 0x3f5db3d7, v5
	v_fmac_f32_e32 v5, 0xbf5db3d7, v21
	;; [unrolled: 2-line block ×3, first 2 shown]
	ds_write2_b32 v36, v18, v51 offset1:30
	ds_write_b32 v36, v19 offset:240
	ds_write2_b32 v37, v7, v20 offset1:30
	ds_write_b32 v37, v14 offset:240
	;; [unrolled: 2-line block ×3, first 2 shown]
	s_and_saveexec_b32 s1, s0
	s_cbranch_execz .LBB0_27
; %bb.26:
	v_lshlrev_b32_sdwa v7, v50, v31 dst_sel:DWORD dst_unused:UNUSED_PAD src0_sel:DWORD src1_sel:WORD_0
	v_lshlrev_b32_sdwa v14, v50, v33 dst_sel:DWORD dst_unused:UNUSED_PAD src0_sel:DWORD src1_sel:WORD_0
	v_add3_u32 v7, 0, v7, v14
	ds_write2_b32 v7, v9, v13 offset1:30
	ds_write_b32 v7, v23 offset:240
.LBB0_27:
	s_or_b32 exec_lo, exec_lo, s1
	s_waitcnt lgkmcnt(0)
	s_barrier
	buffer_gl0_inv
	ds_read_b32 v7, v0
	ds_read_b32 v21, v0 offset:1080
	ds_read_b32 v20, v0 offset:2160
	;; [unrolled: 1-line block ×5, first 2 shown]
	v_cmp_gt_u32_e64 s1, 0x6c, v32
	s_and_saveexec_b32 s2, s1
	s_cbranch_execz .LBB0_29
; %bb.28:
	ds_read_b32 v6, v0 offset:648
	ds_read_b32 v10, v0 offset:1728
	;; [unrolled: 1-line block ×6, first 2 shown]
.LBB0_29:
	s_or_b32 exec_lo, exec_lo, s2
	v_add_f32_e32 v30, v45, v42
	v_add_f32_e32 v34, v11, v45
	;; [unrolled: 1-line block ×3, first 2 shown]
	v_sub_f32_e32 v35, v46, v47
	v_sub_f32_e32 v22, v15, v22
	v_fma_f32 v30, -0.5, v30, v11
	v_add_f32_e32 v11, v12, v44
	v_sub_f32_e32 v44, v49, v48
	v_fmac_f32_e32 v12, -0.5, v45
	v_add_f32_e32 v34, v34, v42
	v_fmamk_f32 v42, v35, 0xbf5db3d7, v30
	v_fmac_f32_e32 v30, 0x3f5db3d7, v35
	v_add_f32_e32 v35, v11, v43
	v_add_f32_e32 v11, v40, v17
	v_fmamk_f32 v43, v44, 0xbf5db3d7, v12
	v_fmac_f32_e32 v12, 0x3f5db3d7, v44
	v_add_f32_e32 v44, v41, v39
	v_add_f32_e32 v40, v8, v40
	v_fmac_f32_e32 v8, -0.5, v11
	v_add_f32_e32 v41, v24, v41
	v_sub_f32_e32 v16, v16, v29
	v_fmac_f32_e32 v24, -0.5, v44
	v_add_f32_e32 v15, v40, v17
	v_fmamk_f32 v11, v22, 0xbf5db3d7, v8
	v_fmac_f32_e32 v8, 0x3f5db3d7, v22
	v_add_f32_e32 v29, v41, v39
	v_fmamk_f32 v22, v16, 0xbf5db3d7, v24
	v_fmac_f32_e32 v24, 0x3f5db3d7, v16
	s_waitcnt lgkmcnt(0)
	s_barrier
	buffer_gl0_inv
	ds_write2_b32 v36, v34, v42 offset1:30
	ds_write_b32 v36, v30 offset:240
	ds_write2_b32 v37, v35, v43 offset1:30
	ds_write_b32 v37, v12 offset:240
	;; [unrolled: 2-line block ×3, first 2 shown]
	s_and_saveexec_b32 s2, s0
	s_cbranch_execz .LBB0_31
; %bb.30:
	v_mov_b32_e32 v12, 2
	v_lshlrev_b32_sdwa v16, v12, v31 dst_sel:DWORD dst_unused:UNUSED_PAD src0_sel:DWORD src1_sel:WORD_0
	v_lshlrev_b32_sdwa v12, v12, v33 dst_sel:DWORD dst_unused:UNUSED_PAD src0_sel:DWORD src1_sel:WORD_0
	v_add3_u32 v12, 0, v16, v12
	ds_write2_b32 v12, v29, v22 offset1:30
	ds_write_b32 v12, v24 offset:240
.LBB0_31:
	s_or_b32 exec_lo, exec_lo, s2
	s_waitcnt lgkmcnt(0)
	s_barrier
	buffer_gl0_inv
	ds_read_b32 v16, v0
	ds_read_b32 v34, v0 offset:1080
	ds_read_b32 v33, v0 offset:2160
	;; [unrolled: 1-line block ×5, first 2 shown]
	s_and_saveexec_b32 s2, s1
	s_cbranch_execz .LBB0_33
; %bb.32:
	ds_read_b32 v15, v0 offset:648
	ds_read_b32 v11, v0 offset:1728
	;; [unrolled: 1-line block ×6, first 2 shown]
.LBB0_33:
	s_or_b32 exec_lo, exec_lo, s2
	v_add_nc_u32_e32 v17, 0xffffffa6, v32
	v_cmp_gt_u32_e64 s2, 0x5a, v32
	v_mov_b32_e32 v36, 0
	v_mov_b32_e32 v38, 5
	v_cndmask_b32_e64 v37, v17, v32, s2
	v_mov_b32_e32 v17, 0x2d83
	v_mul_i32_i24_e32 v35, 5, v37
	v_mul_u32_u24_sdwa v17, v26, v17 dst_sel:DWORD dst_unused:UNUSED_PAD src0_sel:WORD_0 src1_sel:DWORD
	v_lshlrev_b64 v[35:36], 3, v[35:36]
	v_lshrrev_b32_e32 v62, 20, v17
	v_mul_lo_u16 v17, 0x5a, v62
	v_add_co_u32 v35, s2, s8, v35
	v_add_co_ci_u32_e64 v36, s2, s9, v36, s2
	v_sub_nc_u16 v17, v26, v17
	v_cmp_lt_u32_e64 s2, 0x59, v32
	s_clause 0x2
	global_load_dwordx4 v[42:45], v[35:36], off offset:640
	global_load_dwordx4 v[46:49], v[35:36], off offset:656
	global_load_dwordx2 v[58:59], v[35:36], off offset:672
	v_mul_u32_u24_sdwa v35, v17, v38 dst_sel:DWORD dst_unused:UNUSED_PAD src0_sel:WORD_0 src1_sel:DWORD
	v_lshlrev_b32_e32 v36, 2, v37
	v_lshlrev_b32_e32 v35, 3, v35
	s_clause 0x2
	global_load_dwordx4 v[50:53], v35, s[8:9] offset:640
	global_load_dwordx4 v[54:57], v35, s[8:9] offset:656
	global_load_dwordx2 v[60:61], v35, s[8:9] offset:672
	v_cndmask_b32_e64 v35, 0, 0x870, s2
	s_waitcnt vmcnt(0) lgkmcnt(0)
	s_barrier
	buffer_gl0_inv
	v_add3_u32 v35, 0, v35, v36
	v_add_nc_u32_e32 v63, 0x200, v35
	v_add_nc_u32_e32 v64, 0x400, v35
	v_mul_f32_e32 v38, v34, v43
	v_mul_f32_e32 v37, v21, v43
	;; [unrolled: 1-line block ×9, first 2 shown]
	v_fma_f32 v21, v21, v42, -v38
	v_mul_f32_e32 v38, v14, v59
	v_fmac_f32_e32 v37, v34, v42
	v_fma_f32 v42, v20, v44, -v40
	v_fmac_f32_e32 v41, v33, v44
	v_fma_f32 v34, v19, v46, -v43
	v_fma_f32 v44, v18, v48, -v45
	v_fmac_f32_e32 v36, v30, v48
	v_fma_f32 v14, v14, v58, -v47
	v_mul_f32_e32 v30, v8, v53
	v_mul_f32_e32 v45, v29, v55
	;; [unrolled: 1-line block ×5, first 2 shown]
	v_fmac_f32_e32 v39, v31, v46
	v_fmac_f32_e32 v38, v12, v58
	v_mul_f32_e32 v12, v11, v51
	v_mul_f32_e32 v18, v10, v51
	;; [unrolled: 1-line block ×4, first 2 shown]
	v_fma_f32 v43, v5, v52, -v30
	v_fma_f32 v5, v9, v54, -v45
	v_fmac_f32_e32 v20, v29, v54
	v_fma_f32 v9, v23, v60, -v47
	v_fmac_f32_e32 v19, v24, v60
	v_mul_f32_e32 v46, v22, v57
	v_add_f32_e32 v53, v21, v34
	v_add_f32_e32 v55, v34, v14
	;; [unrolled: 1-line block ×3, first 2 shown]
	v_fma_f32 v40, v10, v50, -v12
	v_fmac_f32_e32 v18, v11, v50
	v_fmac_f32_e32 v31, v22, v56
	v_add_f32_e32 v22, v5, v9
	v_add_f32_e32 v23, v20, v19
	;; [unrolled: 1-line block ×4, first 2 shown]
	v_sub_f32_e32 v57, v39, v38
	v_sub_f32_e32 v34, v34, v14
	v_fma_f32 v45, v13, v56, -v46
	v_add_f32_e32 v10, v53, v14
	v_fmac_f32_e32 v21, -0.5, v55
	v_fma_f32 v47, -0.5, v58, v37
	v_add_f32_e32 v14, v40, v5
	v_sub_f32_e32 v29, v20, v19
	v_sub_f32_e32 v5, v5, v9
	v_fmac_f32_e32 v40, -0.5, v22
	v_fma_f32 v23, -0.5, v23, v18
	v_fmac_f32_e32 v33, v8, v52
	v_add_f32_e32 v8, v48, v44
	v_fmac_f32_e32 v7, -0.5, v49
	v_add_f32_e32 v11, v6, v43
	v_add_f32_e32 v12, v43, v45
	v_fmamk_f32 v49, v57, 0x3f5db3d7, v21
	v_fmac_f32_e32 v21, 0xbf5db3d7, v57
	v_fmamk_f32 v48, v34, 0xbf5db3d7, v47
	v_fmamk_f32 v46, v29, 0x3f5db3d7, v40
	v_fmamk_f32 v24, v5, 0xbf5db3d7, v23
	v_fmac_f32_e32 v40, 0xbf5db3d7, v29
	v_sub_f32_e32 v51, v41, v36
	v_sub_f32_e32 v13, v33, v31
	v_fmac_f32_e32 v47, 0x3f5db3d7, v34
	v_add_f32_e32 v34, v8, v10
	v_sub_f32_e32 v50, v8, v10
	v_add_f32_e32 v8, v11, v45
	v_fmac_f32_e32 v6, -0.5, v12
	v_add_f32_e32 v9, v14, v9
	v_mul_f32_e32 v14, 0x3f5db3d7, v48
	v_mul_f32_e32 v22, -0.5, v21
	v_fmac_f32_e32 v23, 0x3f5db3d7, v5
	v_mul_f32_e32 v11, 0x3f5db3d7, v24
	v_mul_f32_e32 v12, -0.5, v40
	v_fmamk_f32 v30, v51, 0x3f5db3d7, v7
	v_fmac_f32_e32 v7, 0xbf5db3d7, v51
	v_fmamk_f32 v10, v13, 0x3f5db3d7, v6
	v_fmac_f32_e32 v6, 0xbf5db3d7, v13
	v_fmac_f32_e32 v14, 0.5, v49
	v_fmac_f32_e32 v22, 0x3f5db3d7, v47
	v_fmac_f32_e32 v11, 0.5, v46
	v_fmac_f32_e32 v12, 0x3f5db3d7, v23
	v_sub_f32_e32 v5, v8, v9
	v_add_f32_e32 v13, v30, v14
	v_add_f32_e32 v51, v7, v22
	v_sub_f32_e32 v14, v30, v14
	v_sub_f32_e32 v7, v7, v22
	;; [unrolled: 1-line block ×4, first 2 shown]
	v_mul_lo_u16 v22, 0x21c, v62
	ds_write2_b32 v35, v34, v13 offset1:90
	ds_write2_b32 v63, v51, v50 offset0:52 offset1:142
	ds_write2_b32 v64, v14, v7 offset0:104 offset1:194
	s_and_saveexec_b32 s2, s1
	s_cbranch_execz .LBB0_35
; %bb.34:
	v_mov_b32_e32 v7, 2
	v_add_f32_e32 v10, v10, v11
	v_add_f32_e32 v8, v8, v9
	;; [unrolled: 1-line block ×3, first 2 shown]
	v_lshlrev_b32_sdwa v13, v7, v17 dst_sel:DWORD dst_unused:UNUSED_PAD src0_sel:DWORD src1_sel:WORD_0
	v_lshlrev_b32_sdwa v7, v7, v22 dst_sel:DWORD dst_unused:UNUSED_PAD src0_sel:DWORD src1_sel:WORD_0
	v_add3_u32 v7, 0, v13, v7
	v_add_nc_u32_e32 v9, 0x200, v7
	v_add_nc_u32_e32 v11, 0x400, v7
	ds_write2_b32 v7, v8, v10 offset1:90
	ds_write2_b32 v9, v6, v5 offset0:52 offset1:142
	ds_write2_b32 v11, v29, v30 offset0:104 offset1:194
.LBB0_35:
	s_or_b32 exec_lo, exec_lo, s2
	v_add_nc_u32_e32 v6, 0x500, v0
	v_add_nc_u32_e32 v11, 0x1000, v0
	v_add_nc_u32_e32 v13, 0xa00, v0
	s_waitcnt lgkmcnt(0)
	s_barrier
	buffer_gl0_inv
	ds_read2_b32 v[7:8], v0 offset1:162
	ds_read2_b32 v[9:10], v6 offset0:4 offset1:220
	ds_read2_b32 v[11:12], v11 offset0:56 offset1:218
	;; [unrolled: 1-line block ×3, first 2 shown]
	ds_read_b32 v34, v0 offset:5616
	s_and_saveexec_b32 s2, s0
	s_cbranch_execz .LBB0_37
; %bb.36:
	ds_read_b32 v29, v0 offset:4104
	ds_read_b32 v5, v28 offset:1944
	;; [unrolled: 1-line block ×3, first 2 shown]
.LBB0_37:
	s_or_b32 exec_lo, exec_lo, s2
	v_add_f32_e32 v6, v41, v36
	v_add_f32_e32 v41, v16, v41
	;; [unrolled: 1-line block ×3, first 2 shown]
	v_sub_f32_e32 v42, v42, v44
	v_mul_f32_e32 v39, 0xbf5db3d7, v49
	v_fmac_f32_e32 v16, -0.5, v6
	v_mul_f32_e32 v6, -0.5, v47
	v_add_f32_e32 v36, v41, v36
	v_add_f32_e32 v37, v37, v38
	v_fmac_f32_e32 v39, 0.5, v48
	v_fmamk_f32 v38, v42, 0xbf5db3d7, v16
	v_fmac_f32_e32 v6, 0xbf5db3d7, v21
	v_add_f32_e32 v21, v33, v31
	v_add_f32_e32 v33, v15, v33
	;; [unrolled: 1-line block ×3, first 2 shown]
	v_sub_f32_e32 v36, v36, v37
	v_sub_f32_e32 v37, v43, v45
	v_fmac_f32_e32 v15, -0.5, v21
	v_add_f32_e32 v21, v33, v31
	v_add_f32_e32 v31, v18, v20
	v_mul_f32_e32 v18, 0xbf5db3d7, v46
	v_mul_f32_e32 v20, -0.5, v23
	v_fmac_f32_e32 v16, 0x3f5db3d7, v42
	v_fmamk_f32 v23, v37, 0xbf5db3d7, v15
	v_fmac_f32_e32 v15, 0x3f5db3d7, v37
	v_add_f32_e32 v19, v31, v19
	v_fmac_f32_e32 v18, 0.5, v24
	v_fmac_f32_e32 v20, 0xbf5db3d7, v40
	v_add_f32_e32 v42, v38, v39
	v_add_f32_e32 v44, v16, v6
	v_sub_f32_e32 v16, v16, v6
	v_sub_f32_e32 v6, v21, v19
	;; [unrolled: 1-line block ×4, first 2 shown]
	v_add_nc_u32_e32 v37, 0x200, v35
	v_sub_f32_e32 v24, v38, v39
	v_add_nc_u32_e32 v38, 0x400, v35
	s_waitcnt lgkmcnt(0)
	s_barrier
	buffer_gl0_inv
	ds_write2_b32 v35, v41, v42 offset1:90
	ds_write2_b32 v37, v44, v36 offset0:52 offset1:142
	ds_write2_b32 v38, v24, v16 offset0:104 offset1:194
	s_and_saveexec_b32 s2, s1
	s_cbranch_execz .LBB0_39
; %bb.38:
	v_mov_b32_e32 v16, 2
	v_add_f32_e32 v18, v23, v18
	v_add_f32_e32 v15, v15, v20
	v_lshlrev_b32_sdwa v17, v16, v17 dst_sel:DWORD dst_unused:UNUSED_PAD src0_sel:DWORD src1_sel:WORD_0
	v_lshlrev_b32_sdwa v16, v16, v22 dst_sel:DWORD dst_unused:UNUSED_PAD src0_sel:DWORD src1_sel:WORD_0
	v_add3_u32 v16, 0, v17, v16
	v_add_f32_e32 v17, v21, v19
	v_add_nc_u32_e32 v19, 0x200, v16
	v_add_nc_u32_e32 v20, 0x400, v16
	ds_write2_b32 v16, v17, v18 offset1:90
	ds_write2_b32 v19, v15, v6 offset0:52 offset1:142
	ds_write2_b32 v20, v31, v33 offset0:104 offset1:194
.LBB0_39:
	s_or_b32 exec_lo, exec_lo, s2
	v_add_nc_u32_e32 v15, 0x500, v0
	v_add_nc_u32_e32 v16, 0x1000, v0
	;; [unrolled: 1-line block ×3, first 2 shown]
	s_waitcnt lgkmcnt(0)
	s_barrier
	buffer_gl0_inv
	ds_read2_b32 v[17:18], v0 offset1:162
	ds_read2_b32 v[19:20], v15 offset0:4 offset1:220
	ds_read2_b32 v[21:22], v16 offset0:56 offset1:218
	;; [unrolled: 1-line block ×3, first 2 shown]
	ds_read_b32 v35, v0 offset:5616
	s_and_saveexec_b32 s1, s0
	s_cbranch_execz .LBB0_41
; %bb.40:
	ds_read_b32 v31, v0 offset:4104
	ds_read_b32 v6, v28 offset:1944
	;; [unrolled: 1-line block ×3, first 2 shown]
.LBB0_41:
	s_or_b32 exec_lo, exec_lo, s1
	s_and_saveexec_b32 s1, vcc_lo
	s_cbranch_execz .LBB0_44
; %bb.42:
	v_lshlrev_b32_e32 v15, 1, v27
	v_mov_b32_e32 v16, 0
	v_add_nc_u32_e32 v50, 0xa2, v32
	v_mul_lo_u32 v48, s4, v4
	v_add_nc_u32_e32 v51, 0x144, v32
	v_lshlrev_b64 v[27:28], 3, v[15:16]
	v_lshlrev_b32_e32 v15, 1, v26
	v_mov_b32_e32 v49, v16
	v_lshlrev_b64 v[40:41], 3, v[15:16]
	v_add_co_u32 v0, vcc_lo, s8, v27
	v_add_co_ci_u32_e32 v27, vcc_lo, s9, v28, vcc_lo
	v_lshlrev_b32_e32 v15, 1, v32
	v_add_co_u32 v26, vcc_lo, 0x1000, v0
	v_add_co_ci_u32_e32 v27, vcc_lo, 0, v27, vcc_lo
	v_add_co_u32 v0, vcc_lo, s8, v40
	v_lshlrev_b64 v[44:45], 3, v[15:16]
	global_load_dwordx4 v[36:39], v[26:27], off offset:144
	v_add_co_ci_u32_e32 v27, vcc_lo, s9, v41, vcc_lo
	v_add_co_u32 v26, vcc_lo, 0x1000, v0
	v_mov_b32_e32 v28, v16
	v_add_co_ci_u32_e32 v27, vcc_lo, 0, v27, vcc_lo
	v_add_co_u32 v0, vcc_lo, s8, v44
	v_add_co_ci_u32_e32 v15, vcc_lo, s9, v45, vcc_lo
	global_load_dwordx4 v[40:43], v[26:27], off offset:144
	v_add_co_u32 v26, vcc_lo, 0x1000, v0
	v_add_co_ci_u32_e32 v27, vcc_lo, 0, v15, vcc_lo
	v_mul_lo_u32 v15, s5, v3
	v_mad_u64_u32 v[3:4], null, s4, v3, 0
	global_load_dwordx4 v[44:47], v[26:27], off offset:144
	v_mul_hi_u32 v0, 0xf2b9d649, v32
	v_lshlrev_b64 v[26:27], 3, v[1:2]
	v_mul_hi_u32 v1, 0xf2b9d649, v50
	v_mul_hi_u32 v2, 0xf2b9d649, v51
	v_add3_u32 v4, v4, v48, v15
	v_lshrrev_b32_e32 v52, 9, v0
	v_add_nc_u32_e32 v0, 0x1e6, v32
	v_lshrrev_b32_e32 v48, 9, v1
	v_lshrrev_b32_e32 v60, 9, v2
	v_lshlrev_b64 v[1:2], 3, v[3:4]
	v_mul_u32_u24_e32 v15, 0x21c, v52
	v_cmp_gt_u32_e32 vcc_lo, 0x21c, v0
	v_mul_u32_u24_e32 v4, 0x21c, v48
	v_sub_nc_u32_e32 v3, v32, v15
	v_mul_u32_u24_e32 v15, 0x21c, v60
	v_add_co_u32 v1, s1, s14, v1
	v_sub_nc_u32_e32 v4, v50, v4
	v_add_co_ci_u32_e64 v52, s1, s15, v2, s1
	v_lshlrev_b32_e32 v53, 3, v3
	v_sub_nc_u32_e32 v61, v51, v15
	v_add_co_u32 v2, s1, v1, v26
	v_mad_u32_u24 v15, 0x654, v48, v4
	v_add_co_ci_u32_e64 v3, s1, v52, v27, s1
	v_add_co_u32 v50, s1, v2, v53
	v_lshlrev_b64 v[52:53], 3, v[15:16]
	v_add_nc_u32_e32 v27, 0x21c, v15
	v_add_nc_u32_e32 v15, 0x438, v15
	v_add_co_ci_u32_e64 v51, s1, 0, v3, s1
	v_add_co_u32 v54, s1, 0x1000, v50
	v_lshlrev_b64 v[58:59], 3, v[15:16]
	v_mad_u32_u24 v15, 0x654, v60, v61
	v_lshlrev_b64 v[26:27], 3, v[27:28]
	v_add_co_ci_u32_e64 v55, s1, 0, v51, s1
	v_add_co_u32 v56, s1, 0x2000, v50
	v_lshlrev_b64 v[60:61], 3, v[15:16]
	v_add_nc_u32_e32 v48, 0x21c, v15
	v_add_nc_u32_e32 v15, 0x438, v15
	v_add_co_ci_u32_e64 v57, s1, 0, v51, s1
	v_add_co_u32 v52, s1, v2, v52
	v_lshlrev_b64 v[62:63], 3, v[15:16]
	v_add_co_ci_u32_e64 v53, s1, v3, v53, s1
	v_add_co_u32 v26, s1, v2, v26
	v_add_co_ci_u32_e64 v27, s1, v3, v27, s1
	v_add_co_u32 v58, s1, v2, v58
	v_lshlrev_b64 v[48:49], 3, v[48:49]
	v_add_co_ci_u32_e64 v59, s1, v3, v59, s1
	v_add_co_u32 v60, s1, v2, v60
	v_add_co_ci_u32_e64 v61, s1, v3, v61, s1
	v_add_co_u32 v48, s1, v2, v48
	;; [unrolled: 2-line block ×3, first 2 shown]
	v_add_co_ci_u32_e64 v63, s1, v3, v63, s1
	s_waitcnt vmcnt(2) lgkmcnt(1)
	v_mul_f32_e32 v1, v24, v37
	s_waitcnt lgkmcnt(0)
	v_mul_f32_e32 v4, v35, v39
	v_mul_f32_e32 v15, v14, v37
	v_mul_f32_e32 v28, v34, v39
	v_fma_f32 v1, v14, v36, -v1
	v_fma_f32 v4, v34, v38, -v4
	v_fmac_f32_e32 v15, v24, v36
	v_fmac_f32_e32 v28, v35, v38
	v_sub_f32_e32 v36, v1, v4
	s_waitcnt vmcnt(1)
	v_mul_f32_e32 v14, v23, v41
	v_mul_f32_e32 v24, v22, v43
	;; [unrolled: 1-line block ×4, first 2 shown]
	v_add_f32_e32 v37, v15, v28
	v_add_f32_e32 v38, v19, v15
	;; [unrolled: 1-line block ×4, first 2 shown]
	v_fma_f32 v43, v13, v40, -v14
	v_fma_f32 v24, v12, v42, -v24
	v_fmac_f32_e32 v34, v23, v40
	v_fmac_f32_e32 v35, v22, v42
	s_waitcnt vmcnt(0)
	v_mul_f32_e32 v22, v20, v45
	v_mul_f32_e32 v23, v21, v47
	;; [unrolled: 1-line block ×4, first 2 shown]
	v_sub_f32_e32 v41, v15, v28
	v_fma_f32 v13, -0.5, v37, v19
	v_add_f32_e32 v15, v38, v28
	v_add_f32_e32 v14, v1, v4
	;; [unrolled: 1-line block ×5, first 2 shown]
	v_fma_f32 v22, v10, v44, -v22
	v_fma_f32 v11, v11, v46, -v23
	v_fmac_f32_e32 v40, v20, v44
	v_fmac_f32_e32 v42, v21, v46
	v_sub_f32_e32 v38, v34, v35
	v_add_f32_e32 v34, v8, v43
	v_fma_f32 v19, -0.5, v4, v18
	v_add_f32_e32 v21, v28, v35
	v_fma_f32 v18, -0.5, v37, v8
	v_add_f32_e32 v8, v40, v42
	v_add_f32_e32 v28, v22, v11
	v_sub_f32_e32 v1, v43, v24
	v_add_f32_e32 v20, v34, v24
	v_sub_f32_e32 v4, v22, v11
	v_add_f32_e32 v24, v17, v40
	v_add_f32_e32 v22, v7, v22
	v_fma_f32 v12, -0.5, v39, v9
	v_sub_f32_e32 v39, v40, v42
	v_fma_f32 v8, -0.5, v8, v17
	v_fma_f32 v7, -0.5, v28, v7
	v_add_f32_e32 v35, v24, v42
	v_add_f32_e32 v34, v22, v11
	v_fmamk_f32 v10, v36, 0x3f5db3d7, v13
	v_fmac_f32_e32 v13, 0xbf5db3d7, v36
	v_fmamk_f32 v37, v4, 0x3f5db3d7, v8
	v_fmac_f32_e32 v8, 0xbf5db3d7, v4
	;; [unrolled: 2-line block ×6, first 2 shown]
	global_store_dwordx2 v[50:51], v[34:35], off
	global_store_dwordx2 v[54:55], v[7:8], off offset:224
	global_store_dwordx2 v[56:57], v[36:37], off offset:448
	global_store_dwordx2 v[52:53], v[20:21], off
	global_store_dwordx2 v[26:27], v[18:19], off
	;; [unrolled: 1-line block ×6, first 2 shown]
	s_and_b32 exec_lo, exec_lo, vcc_lo
	s_cbranch_execz .LBB0_44
; %bb.43:
	v_subrev_nc_u32_e32 v1, 54, v32
	v_cndmask_b32_e64 v1, v1, v25, s0
	v_lshlrev_b32_e32 v15, 1, v1
	v_lshlrev_b64 v[7:8], 3, v[15:16]
	v_add_nc_u32_e32 v15, 0x402, v32
	v_lshlrev_b64 v[11:12], 3, v[15:16]
	v_add_co_u32 v1, vcc_lo, s8, v7
	v_add_co_ci_u32_e32 v4, vcc_lo, s9, v8, vcc_lo
	v_add_nc_u32_e32 v15, 0x61e, v32
	v_add_co_u32 v7, vcc_lo, 0x1000, v1
	v_add_co_ci_u32_e32 v8, vcc_lo, 0, v4, vcc_lo
	v_mov_b32_e32 v1, v16
	v_lshlrev_b64 v[13:14], 3, v[15:16]
	global_load_dwordx4 v[7:10], v[7:8], off offset:144
	v_lshlrev_b64 v[0:1], 3, v[0:1]
	v_add_co_u32 v0, vcc_lo, v2, v0
	v_add_co_ci_u32_e32 v1, vcc_lo, v3, v1, vcc_lo
	s_waitcnt vmcnt(0)
	v_mul_f32_e32 v4, v31, v8
	v_mul_f32_e32 v8, v29, v8
	;; [unrolled: 1-line block ×4, first 2 shown]
	v_add_co_u32 v10, vcc_lo, v2, v11
	v_fma_f32 v4, v29, v7, -v4
	v_fmac_f32_e32 v8, v31, v7
	v_fma_f32 v7, v30, v9, -v15
	v_fmac_f32_e32 v16, v33, v9
	v_add_co_ci_u32_e32 v11, vcc_lo, v3, v12, vcc_lo
	v_add_co_u32 v2, vcc_lo, v2, v13
	v_add_f32_e32 v9, v4, v7
	v_add_f32_e32 v13, v8, v16
	v_add_co_ci_u32_e32 v3, vcc_lo, v3, v14, vcc_lo
	v_add_f32_e32 v12, v5, v4
	v_sub_f32_e32 v14, v8, v16
	v_add_f32_e32 v8, v6, v8
	v_fmac_f32_e32 v5, -0.5, v9
	v_sub_f32_e32 v4, v4, v7
	v_fmac_f32_e32 v6, -0.5, v13
	v_add_f32_e32 v7, v12, v7
	v_add_f32_e32 v8, v8, v16
	v_fmamk_f32 v12, v14, 0x3f5db3d7, v5
	v_fmac_f32_e32 v5, 0xbf5db3d7, v14
	v_fmamk_f32 v13, v4, 0xbf5db3d7, v6
	v_fmac_f32_e32 v6, 0x3f5db3d7, v4
	global_store_dwordx2 v[0:1], v[7:8], off
	global_store_dwordx2 v[10:11], v[12:13], off
	;; [unrolled: 1-line block ×3, first 2 shown]
.LBB0_44:
	s_endpgm
	.section	.rodata,"a",@progbits
	.p2align	6, 0x0
	.amdhsa_kernel fft_rtc_fwd_len1620_factors_10_3_3_6_3_wgs_162_tpt_162_halfLds_sp_op_CI_CI_unitstride_sbrr_dirReg
		.amdhsa_group_segment_fixed_size 0
		.amdhsa_private_segment_fixed_size 0
		.amdhsa_kernarg_size 104
		.amdhsa_user_sgpr_count 6
		.amdhsa_user_sgpr_private_segment_buffer 1
		.amdhsa_user_sgpr_dispatch_ptr 0
		.amdhsa_user_sgpr_queue_ptr 0
		.amdhsa_user_sgpr_kernarg_segment_ptr 1
		.amdhsa_user_sgpr_dispatch_id 0
		.amdhsa_user_sgpr_flat_scratch_init 0
		.amdhsa_user_sgpr_private_segment_size 0
		.amdhsa_wavefront_size32 1
		.amdhsa_uses_dynamic_stack 0
		.amdhsa_system_sgpr_private_segment_wavefront_offset 0
		.amdhsa_system_sgpr_workgroup_id_x 1
		.amdhsa_system_sgpr_workgroup_id_y 0
		.amdhsa_system_sgpr_workgroup_id_z 0
		.amdhsa_system_sgpr_workgroup_info 0
		.amdhsa_system_vgpr_workitem_id 0
		.amdhsa_next_free_vgpr 68
		.amdhsa_next_free_sgpr 27
		.amdhsa_reserve_vcc 1
		.amdhsa_reserve_flat_scratch 0
		.amdhsa_float_round_mode_32 0
		.amdhsa_float_round_mode_16_64 0
		.amdhsa_float_denorm_mode_32 3
		.amdhsa_float_denorm_mode_16_64 3
		.amdhsa_dx10_clamp 1
		.amdhsa_ieee_mode 1
		.amdhsa_fp16_overflow 0
		.amdhsa_workgroup_processor_mode 1
		.amdhsa_memory_ordered 1
		.amdhsa_forward_progress 0
		.amdhsa_shared_vgpr_count 0
		.amdhsa_exception_fp_ieee_invalid_op 0
		.amdhsa_exception_fp_denorm_src 0
		.amdhsa_exception_fp_ieee_div_zero 0
		.amdhsa_exception_fp_ieee_overflow 0
		.amdhsa_exception_fp_ieee_underflow 0
		.amdhsa_exception_fp_ieee_inexact 0
		.amdhsa_exception_int_div_zero 0
	.end_amdhsa_kernel
	.text
.Lfunc_end0:
	.size	fft_rtc_fwd_len1620_factors_10_3_3_6_3_wgs_162_tpt_162_halfLds_sp_op_CI_CI_unitstride_sbrr_dirReg, .Lfunc_end0-fft_rtc_fwd_len1620_factors_10_3_3_6_3_wgs_162_tpt_162_halfLds_sp_op_CI_CI_unitstride_sbrr_dirReg
                                        ; -- End function
	.section	.AMDGPU.csdata,"",@progbits
; Kernel info:
; codeLenInByte = 7996
; NumSgprs: 29
; NumVgprs: 68
; ScratchSize: 0
; MemoryBound: 0
; FloatMode: 240
; IeeeMode: 1
; LDSByteSize: 0 bytes/workgroup (compile time only)
; SGPRBlocks: 3
; VGPRBlocks: 8
; NumSGPRsForWavesPerEU: 29
; NumVGPRsForWavesPerEU: 68
; Occupancy: 12
; WaveLimiterHint : 1
; COMPUTE_PGM_RSRC2:SCRATCH_EN: 0
; COMPUTE_PGM_RSRC2:USER_SGPR: 6
; COMPUTE_PGM_RSRC2:TRAP_HANDLER: 0
; COMPUTE_PGM_RSRC2:TGID_X_EN: 1
; COMPUTE_PGM_RSRC2:TGID_Y_EN: 0
; COMPUTE_PGM_RSRC2:TGID_Z_EN: 0
; COMPUTE_PGM_RSRC2:TIDIG_COMP_CNT: 0
	.text
	.p2alignl 6, 3214868480
	.fill 48, 4, 3214868480
	.type	__hip_cuid_145ac6b865aa8c1a,@object ; @__hip_cuid_145ac6b865aa8c1a
	.section	.bss,"aw",@nobits
	.globl	__hip_cuid_145ac6b865aa8c1a
__hip_cuid_145ac6b865aa8c1a:
	.byte	0                               ; 0x0
	.size	__hip_cuid_145ac6b865aa8c1a, 1

	.ident	"AMD clang version 19.0.0git (https://github.com/RadeonOpenCompute/llvm-project roc-6.4.0 25133 c7fe45cf4b819c5991fe208aaa96edf142730f1d)"
	.section	".note.GNU-stack","",@progbits
	.addrsig
	.addrsig_sym __hip_cuid_145ac6b865aa8c1a
	.amdgpu_metadata
---
amdhsa.kernels:
  - .args:
      - .actual_access:  read_only
        .address_space:  global
        .offset:         0
        .size:           8
        .value_kind:     global_buffer
      - .offset:         8
        .size:           8
        .value_kind:     by_value
      - .actual_access:  read_only
        .address_space:  global
        .offset:         16
        .size:           8
        .value_kind:     global_buffer
      - .actual_access:  read_only
        .address_space:  global
        .offset:         24
        .size:           8
        .value_kind:     global_buffer
      - .actual_access:  read_only
        .address_space:  global
        .offset:         32
        .size:           8
        .value_kind:     global_buffer
      - .offset:         40
        .size:           8
        .value_kind:     by_value
      - .actual_access:  read_only
        .address_space:  global
        .offset:         48
        .size:           8
        .value_kind:     global_buffer
      - .actual_access:  read_only
        .address_space:  global
        .offset:         56
        .size:           8
        .value_kind:     global_buffer
      - .offset:         64
        .size:           4
        .value_kind:     by_value
      - .actual_access:  read_only
        .address_space:  global
        .offset:         72
        .size:           8
        .value_kind:     global_buffer
      - .actual_access:  read_only
        .address_space:  global
        .offset:         80
        .size:           8
        .value_kind:     global_buffer
      - .actual_access:  read_only
        .address_space:  global
        .offset:         88
        .size:           8
        .value_kind:     global_buffer
      - .actual_access:  write_only
        .address_space:  global
        .offset:         96
        .size:           8
        .value_kind:     global_buffer
    .group_segment_fixed_size: 0
    .kernarg_segment_align: 8
    .kernarg_segment_size: 104
    .language:       OpenCL C
    .language_version:
      - 2
      - 0
    .max_flat_workgroup_size: 162
    .name:           fft_rtc_fwd_len1620_factors_10_3_3_6_3_wgs_162_tpt_162_halfLds_sp_op_CI_CI_unitstride_sbrr_dirReg
    .private_segment_fixed_size: 0
    .sgpr_count:     29
    .sgpr_spill_count: 0
    .symbol:         fft_rtc_fwd_len1620_factors_10_3_3_6_3_wgs_162_tpt_162_halfLds_sp_op_CI_CI_unitstride_sbrr_dirReg.kd
    .uniform_work_group_size: 1
    .uses_dynamic_stack: false
    .vgpr_count:     68
    .vgpr_spill_count: 0
    .wavefront_size: 32
    .workgroup_processor_mode: 1
amdhsa.target:   amdgcn-amd-amdhsa--gfx1030
amdhsa.version:
  - 1
  - 2
...

	.end_amdgpu_metadata
